;; amdgpu-corpus repo=ROCm/rocFFT kind=compiled arch=gfx950 opt=O3
	.text
	.amdgcn_target "amdgcn-amd-amdhsa--gfx950"
	.amdhsa_code_object_version 6
	.protected	fft_rtc_fwd_len540_factors_3_10_6_3_wgs_216_tpt_54_halfLds_dp_ip_CI_sbrr_dirReg ; -- Begin function fft_rtc_fwd_len540_factors_3_10_6_3_wgs_216_tpt_54_halfLds_dp_ip_CI_sbrr_dirReg
	.globl	fft_rtc_fwd_len540_factors_3_10_6_3_wgs_216_tpt_54_halfLds_dp_ip_CI_sbrr_dirReg
	.p2align	8
	.type	fft_rtc_fwd_len540_factors_3_10_6_3_wgs_216_tpt_54_halfLds_dp_ip_CI_sbrr_dirReg,@function
fft_rtc_fwd_len540_factors_3_10_6_3_wgs_216_tpt_54_halfLds_dp_ip_CI_sbrr_dirReg: ; @fft_rtc_fwd_len540_factors_3_10_6_3_wgs_216_tpt_54_halfLds_dp_ip_CI_sbrr_dirReg
; %bb.0:
	s_load_dwordx2 s[12:13], s[0:1], 0x18
	s_load_dwordx4 s[8:11], s[0:1], 0x0
	s_load_dwordx2 s[4:5], s[0:1], 0x50
	v_mul_u32_u24_e32 v1, 0x4be, v0
	v_lshrrev_b32_e32 v1, 16, v1
	s_waitcnt lgkmcnt(0)
	s_load_dwordx2 s[6:7], s[12:13], 0x0
	v_lshl_add_u32 v6, s2, 2, v1
	v_mov_b32_e32 v4, 0
	v_cmp_lt_u64_e64 s[2:3], s[10:11], 2
	v_mov_b32_e32 v7, v4
	s_and_b64 vcc, exec, s[2:3]
	v_mov_b64_e32 v[2:3], 0
	s_cbranch_vccnz .LBB0_8
; %bb.1:
	s_load_dwordx2 s[2:3], s[0:1], 0x10
	s_add_u32 s14, s12, 8
	s_addc_u32 s15, s13, 0
	s_mov_b64 s[16:17], 1
	v_mov_b64_e32 v[2:3], 0
	s_waitcnt lgkmcnt(0)
	s_add_u32 s18, s2, 8
	s_addc_u32 s19, s3, 0
.LBB0_2:                                ; =>This Inner Loop Header: Depth=1
	s_load_dwordx2 s[20:21], s[18:19], 0x0
                                        ; implicit-def: $vgpr8_vgpr9
	s_waitcnt lgkmcnt(0)
	v_or_b32_e32 v5, s21, v7
	v_cmp_ne_u64_e32 vcc, 0, v[4:5]
	s_and_saveexec_b64 s[2:3], vcc
	s_xor_b64 s[22:23], exec, s[2:3]
	s_cbranch_execz .LBB0_4
; %bb.3:                                ;   in Loop: Header=BB0_2 Depth=1
	v_cvt_f32_u32_e32 v5, s20
	v_cvt_f32_u32_e32 v8, s21
	s_sub_u32 s2, 0, s20
	s_subb_u32 s3, 0, s21
	v_fmac_f32_e32 v5, 0x4f800000, v8
	v_rcp_f32_e32 v5, v5
	s_nop 0
	v_mul_f32_e32 v5, 0x5f7ffffc, v5
	v_mul_f32_e32 v8, 0x2f800000, v5
	v_trunc_f32_e32 v8, v8
	v_fmac_f32_e32 v5, 0xcf800000, v8
	v_cvt_u32_f32_e32 v12, v8
	v_cvt_u32_f32_e32 v5, v5
	v_mul_lo_u32 v8, s2, v12
	v_mul_hi_u32 v10, s2, v5
	v_mul_lo_u32 v9, s3, v5
	v_add_u32_e32 v10, v10, v8
	v_mul_lo_u32 v13, s2, v5
	v_add_u32_e32 v14, v10, v9
	v_mul_hi_u32 v8, v5, v13
	v_mul_hi_u32 v11, v5, v14
	v_mul_lo_u32 v10, v5, v14
	v_mov_b32_e32 v9, v4
	v_lshl_add_u64 v[8:9], v[8:9], 0, v[10:11]
	v_mul_hi_u32 v11, v12, v13
	v_mul_lo_u32 v13, v12, v13
	v_add_co_u32_e32 v8, vcc, v8, v13
	v_mul_hi_u32 v10, v12, v14
	s_nop 0
	v_addc_co_u32_e32 v8, vcc, v9, v11, vcc
	v_mov_b32_e32 v9, v4
	s_nop 0
	v_addc_co_u32_e32 v11, vcc, 0, v10, vcc
	v_mul_lo_u32 v10, v12, v14
	v_lshl_add_u64 v[8:9], v[8:9], 0, v[10:11]
	v_add_co_u32_e32 v5, vcc, v5, v8
	v_mul_lo_u32 v10, s2, v5
	s_nop 0
	v_addc_co_u32_e32 v12, vcc, v12, v9, vcc
	v_mul_lo_u32 v8, s2, v12
	v_mul_hi_u32 v9, s2, v5
	v_add_u32_e32 v8, v9, v8
	v_mul_lo_u32 v9, s3, v5
	v_add_u32_e32 v13, v8, v9
	v_mul_hi_u32 v15, v12, v10
	v_mul_lo_u32 v16, v12, v10
	v_mul_hi_u32 v9, v5, v13
	v_mul_lo_u32 v8, v5, v13
	v_mul_hi_u32 v10, v5, v10
	v_mov_b32_e32 v11, v4
	v_lshl_add_u64 v[8:9], v[10:11], 0, v[8:9]
	v_add_co_u32_e32 v8, vcc, v8, v16
	v_mul_hi_u32 v14, v12, v13
	s_nop 0
	v_addc_co_u32_e32 v8, vcc, v9, v15, vcc
	v_mul_lo_u32 v10, v12, v13
	s_nop 0
	v_addc_co_u32_e32 v11, vcc, 0, v14, vcc
	v_mov_b32_e32 v9, v4
	v_lshl_add_u64 v[8:9], v[8:9], 0, v[10:11]
	v_add_co_u32_e32 v5, vcc, v5, v8
	v_mul_hi_u32 v10, v6, v5
	s_nop 0
	v_addc_co_u32_e32 v12, vcc, v12, v9, vcc
	v_mad_u64_u32 v[8:9], s[2:3], v6, v12, 0
	v_mov_b32_e32 v11, v4
	v_lshl_add_u64 v[8:9], v[10:11], 0, v[8:9]
	v_mad_u64_u32 v[10:11], s[2:3], v7, v12, 0
	v_mad_u64_u32 v[12:13], s[2:3], v7, v5, 0
	v_add_co_u32_e32 v5, vcc, v8, v12
	s_nop 1
	v_addc_co_u32_e32 v8, vcc, v9, v13, vcc
	v_mov_b32_e32 v9, v4
	s_nop 0
	v_addc_co_u32_e32 v11, vcc, 0, v11, vcc
	v_lshl_add_u64 v[8:9], v[8:9], 0, v[10:11]
	v_mul_lo_u32 v5, s21, v8
	v_mul_lo_u32 v12, s20, v9
	v_mad_u64_u32 v[10:11], s[2:3], s20, v8, 0
	v_add3_u32 v5, v11, v12, v5
	v_sub_u32_e32 v11, v7, v5
	v_mov_b32_e32 v12, s21
	v_sub_co_u32_e32 v14, vcc, v6, v10
	s_nop 1
	v_subb_co_u32_e64 v10, s[2:3], v11, v12, vcc
	v_subrev_co_u32_e64 v11, s[2:3], s20, v14
	v_subb_co_u32_e32 v5, vcc, v7, v5, vcc
	s_nop 0
	v_subbrev_co_u32_e64 v10, s[2:3], 0, v10, s[2:3]
	v_cmp_le_u32_e64 s[2:3], s21, v10
	v_cmp_le_u32_e32 vcc, s21, v5
	s_nop 0
	v_cndmask_b32_e64 v12, 0, -1, s[2:3]
	v_cmp_le_u32_e64 s[2:3], s20, v11
	s_nop 1
	v_cndmask_b32_e64 v11, 0, -1, s[2:3]
	v_cmp_eq_u32_e64 s[2:3], s21, v10
	s_nop 1
	v_cndmask_b32_e64 v15, v12, v11, s[2:3]
	v_lshl_add_u64 v[10:11], v[8:9], 0, 2
	v_lshl_add_u64 v[12:13], v[8:9], 0, 1
	v_cmp_ne_u32_e64 s[2:3], 0, v15
	s_nop 1
	v_cndmask_b32_e64 v11, v13, v11, s[2:3]
	v_cndmask_b32_e64 v13, 0, -1, vcc
	v_cmp_le_u32_e32 vcc, s20, v14
	s_nop 1
	v_cndmask_b32_e64 v14, 0, -1, vcc
	v_cmp_eq_u32_e32 vcc, s21, v5
	s_nop 1
	v_cndmask_b32_e32 v5, v13, v14, vcc
	v_cmp_ne_u32_e32 vcc, 0, v5
	v_cndmask_b32_e64 v5, v12, v10, s[2:3]
	s_nop 0
	v_cndmask_b32_e32 v9, v9, v11, vcc
	v_cndmask_b32_e32 v8, v8, v5, vcc
.LBB0_4:                                ;   in Loop: Header=BB0_2 Depth=1
	s_andn2_saveexec_b64 s[2:3], s[22:23]
	s_cbranch_execz .LBB0_6
; %bb.5:                                ;   in Loop: Header=BB0_2 Depth=1
	v_cvt_f32_u32_e32 v5, s20
	s_sub_i32 s22, 0, s20
	v_rcp_iflag_f32_e32 v5, v5
	s_nop 0
	v_mul_f32_e32 v5, 0x4f7ffffe, v5
	v_cvt_u32_f32_e32 v5, v5
	v_mul_lo_u32 v8, s22, v5
	v_mul_hi_u32 v8, v5, v8
	v_add_u32_e32 v5, v5, v8
	v_mul_hi_u32 v5, v6, v5
	v_mul_lo_u32 v8, v5, s20
	v_sub_u32_e32 v8, v6, v8
	v_add_u32_e32 v9, 1, v5
	v_subrev_u32_e32 v10, s20, v8
	v_cmp_le_u32_e32 vcc, s20, v8
	s_nop 1
	v_cndmask_b32_e32 v8, v8, v10, vcc
	v_cndmask_b32_e32 v5, v5, v9, vcc
	v_add_u32_e32 v9, 1, v5
	v_cmp_le_u32_e32 vcc, s20, v8
	s_nop 1
	v_cndmask_b32_e32 v8, v5, v9, vcc
	v_mov_b32_e32 v9, v4
.LBB0_6:                                ;   in Loop: Header=BB0_2 Depth=1
	s_or_b64 exec, exec, s[2:3]
	v_mad_u64_u32 v[10:11], s[2:3], v8, s20, 0
	s_load_dwordx2 s[2:3], s[14:15], 0x0
	v_mul_lo_u32 v5, v9, s20
	v_mul_lo_u32 v12, v8, s21
	v_add3_u32 v5, v11, v12, v5
	v_sub_co_u32_e32 v6, vcc, v6, v10
	s_add_u32 s16, s16, 1
	s_nop 0
	v_subb_co_u32_e32 v5, vcc, v7, v5, vcc
	s_addc_u32 s17, s17, 0
	s_waitcnt lgkmcnt(0)
	v_mul_lo_u32 v5, s2, v5
	v_mul_lo_u32 v7, s3, v6
	v_mad_u64_u32 v[2:3], s[2:3], s2, v6, v[2:3]
	s_add_u32 s14, s14, 8
	v_add3_u32 v3, v7, v3, v5
	s_addc_u32 s15, s15, 0
	v_mov_b64_e32 v[6:7], s[10:11]
	s_add_u32 s18, s18, 8
	v_cmp_ge_u64_e32 vcc, s[16:17], v[6:7]
	s_addc_u32 s19, s19, 0
	s_cbranch_vccnz .LBB0_9
; %bb.7:                                ;   in Loop: Header=BB0_2 Depth=1
	v_mov_b64_e32 v[6:7], v[8:9]
	s_branch .LBB0_2
.LBB0_8:
	v_mov_b64_e32 v[8:9], v[6:7]
.LBB0_9:
	s_lshl_b64 s[2:3], s[10:11], 3
	s_add_u32 s2, s12, s2
	s_addc_u32 s3, s13, s3
	s_load_dwordx2 s[10:11], s[2:3], 0x0
	s_load_dwordx2 s[12:13], s[0:1], 0x20
	s_mov_b32 s2, 0x4bda130
                                        ; implicit-def: $vgpr92
                                        ; implicit-def: $vgpr90
	s_waitcnt lgkmcnt(0)
	v_mul_lo_u32 v4, s10, v9
	v_mul_lo_u32 v5, s11, v8
	v_mad_u64_u32 v[2:3], s[0:1], s10, v8, v[2:3]
	v_add3_u32 v3, v5, v3, v4
	v_mul_hi_u32 v4, v0, s2
	v_mul_u32_u24_e32 v4, 54, v4
	v_sub_u32_e32 v88, v0, v4
	v_cmp_gt_u64_e32 vcc, s[12:13], v[8:9]
	v_cmp_le_u64_e64 s[0:1], s[12:13], v[8:9]
	v_add_u32_e32 v89, 54, v88
	s_and_saveexec_b64 s[2:3], s[0:1]
	s_xor_b64 s[0:1], exec, s[2:3]
; %bb.10:
	v_add_u32_e32 v92, 54, v88
	v_add_u32_e32 v90, 0x6c, v88
; %bb.11:
	s_or_saveexec_b64 s[2:3], s[0:1]
	v_lshl_add_u64 v[70:71], v[2:3], 4, s[4:5]
                                        ; implicit-def: $vgpr50_vgpr51
                                        ; implicit-def: $vgpr46_vgpr47
                                        ; implicit-def: $vgpr42_vgpr43
                                        ; implicit-def: $vgpr38_vgpr39
                                        ; implicit-def: $vgpr34_vgpr35
                                        ; implicit-def: $vgpr22_vgpr23
                                        ; implicit-def: $vgpr26_vgpr27
                                        ; implicit-def: $vgpr30_vgpr31
                                        ; implicit-def: $vgpr12_vgpr13
                                        ; implicit-def: $vgpr16_vgpr17
                                        ; implicit-def: $vgpr8_vgpr9
                                        ; implicit-def: $vgpr4_vgpr5
	s_xor_b64 exec, exec, s[2:3]
	s_cbranch_execz .LBB0_15
; %bb.12:
	v_mad_u64_u32 v[2:3], s[0:1], s6, v88, 0
	v_mov_b32_e32 v0, v3
	v_mad_u64_u32 v[4:5], s[0:1], s7, v88, v[0:1]
	v_mov_b32_e32 v3, v4
	v_add_u32_e32 v4, 0xb4, v88
	v_lshl_add_u64 v[10:11], v[2:3], 4, v[70:71]
	v_mad_u64_u32 v[2:3], s[0:1], s6, v4, 0
	v_mov_b32_e32 v0, v3
	v_mad_u64_u32 v[4:5], s[0:1], s7, v4, v[0:1]
	v_mov_b32_e32 v3, v4
	v_lshl_add_u64 v[12:13], v[2:3], 4, v[70:71]
	global_load_dwordx4 v[2:5], v[10:11], off
	global_load_dwordx4 v[6:9], v[12:13], off
	v_add_u32_e32 v12, 0x168, v88
	v_mad_u64_u32 v[10:11], s[0:1], s6, v12, 0
	v_mov_b32_e32 v0, v11
	v_mad_u64_u32 v[12:13], s[0:1], s7, v12, v[0:1]
	v_mov_b32_e32 v11, v12
	v_lshl_add_u64 v[18:19], v[10:11], 4, v[70:71]
	v_mad_u64_u32 v[10:11], s[0:1], s6, v89, 0
	v_mov_b32_e32 v0, v11
	v_mad_u64_u32 v[12:13], s[0:1], s7, v89, v[0:1]
	v_mov_b32_e32 v11, v12
	v_lshl_add_u64 v[20:21], v[10:11], 4, v[70:71]
	global_load_dwordx4 v[14:17], v[18:19], off
	global_load_dwordx4 v[10:13], v[20:21], off
	v_add_u32_e32 v20, 0xea, v88
	v_mad_u64_u32 v[18:19], s[0:1], s6, v20, 0
	v_mov_b32_e32 v0, v19
	v_mad_u64_u32 v[20:21], s[0:1], s7, v20, v[0:1]
	v_add_u32_e32 v22, 0x19e, v88
	v_mov_b32_e32 v19, v20
	v_mad_u64_u32 v[20:21], s[0:1], s6, v22, 0
	v_mov_b32_e32 v0, v21
	v_mad_u64_u32 v[22:23], s[0:1], s7, v22, v[0:1]
	v_lshl_add_u64 v[18:19], v[18:19], 4, v[70:71]
	v_mov_b32_e32 v21, v22
	v_add_u32_e32 v90, 0x6c, v88
	v_lshl_add_u64 v[20:21], v[20:21], 4, v[70:71]
	global_load_dwordx4 v[28:31], v[18:19], off
	global_load_dwordx4 v[24:27], v[20:21], off
	v_mad_u64_u32 v[18:19], s[0:1], s6, v90, 0
	v_mov_b32_e32 v0, v19
	v_mad_u64_u32 v[20:21], s[0:1], s7, v90, v[0:1]
	v_add_u32_e32 v22, 0x120, v88
	v_mov_b32_e32 v19, v20
	v_mad_u64_u32 v[20:21], s[0:1], s6, v22, 0
	v_mov_b32_e32 v0, v21
	v_mad_u64_u32 v[22:23], s[0:1], s7, v22, v[0:1]
	v_mov_b32_e32 v21, v22
	v_lshl_add_u64 v[18:19], v[18:19], 4, v[70:71]
	v_lshl_add_u64 v[36:37], v[20:21], 4, v[70:71]
	global_load_dwordx4 v[20:23], v[18:19], off
	global_load_dwordx4 v[32:35], v[36:37], off
	v_add_u32_e32 v36, 0x1d4, v88
	v_mad_u64_u32 v[18:19], s[0:1], s6, v36, 0
	v_mov_b32_e32 v0, v19
	v_mad_u64_u32 v[36:37], s[0:1], s7, v36, v[0:1]
	v_mov_b32_e32 v19, v36
	v_lshl_add_u64 v[18:19], v[18:19], 4, v[70:71]
	global_load_dwordx4 v[36:39], v[18:19], off
	v_cmp_gt_u32_e64 s[0:1], 18, v88
                                        ; implicit-def: $vgpr40_vgpr41
                                        ; implicit-def: $vgpr44_vgpr45
                                        ; implicit-def: $vgpr48_vgpr49
	s_and_saveexec_b64 s[4:5], s[0:1]
	s_cbranch_execz .LBB0_14
; %bb.13:
	v_add_u32_e32 v40, 0xa2, v88
	v_mad_u64_u32 v[18:19], s[0:1], s6, v40, 0
	v_mov_b32_e32 v0, v19
	v_mad_u64_u32 v[40:41], s[0:1], s7, v40, v[0:1]
	v_add_u32_e32 v42, 0x156, v88
	v_mov_b32_e32 v19, v40
	v_mad_u64_u32 v[40:41], s[0:1], s6, v42, 0
	v_mov_b32_e32 v0, v41
	v_mad_u64_u32 v[42:43], s[0:1], s7, v42, v[0:1]
	v_mov_b32_e32 v41, v42
	v_lshl_add_u64 v[18:19], v[18:19], 4, v[70:71]
	v_lshl_add_u64 v[48:49], v[40:41], 4, v[70:71]
	global_load_dwordx4 v[40:43], v[18:19], off
	global_load_dwordx4 v[44:47], v[48:49], off
	v_add_u32_e32 v48, 0x20a, v88
	v_mad_u64_u32 v[18:19], s[0:1], s6, v48, 0
	v_mov_b32_e32 v0, v19
	v_mad_u64_u32 v[48:49], s[0:1], s7, v48, v[0:1]
	v_mov_b32_e32 v19, v48
	v_lshl_add_u64 v[18:19], v[18:19], 4, v[70:71]
	global_load_dwordx4 v[48:51], v[18:19], off
.LBB0_14:
	s_or_b64 exec, exec, s[4:5]
	v_mov_b32_e32 v92, v89
.LBB0_15:
	s_or_b64 exec, exec, s[2:3]
	s_waitcnt vmcnt(7)
	v_add_f64 v[18:19], v[6:7], v[2:3]
	v_and_b32_e32 v0, 3, v1
	s_waitcnt vmcnt(6)
	v_add_f64 v[52:53], v[14:15], v[18:19]
	v_add_f64 v[18:19], v[14:15], v[6:7]
	s_mov_b32 s2, 0xe8584caa
	v_mul_u32_u24_e32 v0, 0x21c, v0
	v_fmac_f64_e32 v[2:3], -0.5, v[18:19]
	v_add_f64 v[18:19], v[8:9], -v[16:17]
	s_mov_b32 s3, 0x3febb67a
	s_mov_b32 s5, 0xbfebb67a
	;; [unrolled: 1-line block ×3, first 2 shown]
	v_fma_f64 v[56:57], s[2:3], v[18:19], v[2:3]
	v_fmac_f64_e32 v[2:3], s[4:5], v[18:19]
	v_mad_u32_u24 v18, v88, 24, 0
	v_lshlrev_b32_e32 v93, 3, v0
	v_add_u32_e32 v54, v18, v93
	ds_write2_b64 v54, v[52:53], v[56:57] offset1:1
	s_waitcnt vmcnt(4)
	v_add_f64 v[52:53], v[28:29], v[10:11]
	s_waitcnt vmcnt(3)
	v_add_f64 v[56:57], v[24:25], v[52:53]
	v_add_f64 v[52:53], v[24:25], v[28:29]
	v_fmac_f64_e32 v[10:11], -0.5, v[52:53]
	v_add_f64 v[58:59], v[30:31], -v[26:27]
	v_mad_i32_i24 v1, v92, 24, 0
	ds_write_b64 v54, v[2:3] offset:16
	v_add_u32_e32 v52, v1, v93
	v_fma_f64 v[2:3], s[2:3], v[58:59], v[10:11]
	ds_write2_b64 v52, v[56:57], v[2:3] offset1:1
	v_fmac_f64_e32 v[10:11], s[4:5], v[58:59]
	s_waitcnt vmcnt(0)
	v_add_f64 v[56:57], v[36:37], v[32:33]
	v_add_f64 v[2:3], v[32:33], v[20:21]
	v_fmac_f64_e32 v[20:21], -0.5, v[56:57]
	ds_write_b64 v52, v[10:11] offset:16
	v_mad_i32_i24 v10, v90, 24, 0
	v_add_f64 v[56:57], v[34:35], -v[38:39]
	v_add_f64 v[2:3], v[36:37], v[2:3]
	v_add_u32_e32 v53, v10, v93
	v_fma_f64 v[58:59], s[2:3], v[56:57], v[20:21]
	ds_write2_b64 v53, v[2:3], v[58:59] offset1:1
	v_add_f64 v[2:3], v[48:49], v[44:45]
	v_fmac_f64_e32 v[20:21], s[4:5], v[56:57]
	v_fma_f64 v[72:73], -0.5, v[2:3], v[40:41]
	v_add_f64 v[56:57], v[46:47], -v[50:51]
	v_fma_f64 v[2:3], s[2:3], v[56:57], v[72:73]
	v_fmac_f64_e32 v[72:73], s[4:5], v[56:57]
	v_cmp_gt_u32_e64 s[0:1], 18, v88
	ds_write_b64 v53, v[20:21] offset:16
	s_and_saveexec_b64 s[10:11], s[0:1]
	s_cbranch_execz .LBB0_17
; %bb.16:
	v_add_f64 v[20:21], v[44:45], v[40:41]
	v_lshl_add_u32 v0, v0, 3, v18
	v_add_f64 v[20:21], v[48:49], v[20:21]
	v_add_u32_e32 v11, 0xf30, v0
	ds_write2_b64 v11, v[20:21], v[2:3] offset1:1
	ds_write_b64 v0, v[72:73] offset:3904
.LBB0_17:
	s_or_b64 exec, exec, s[10:11]
	v_add_f64 v[18:19], v[8:9], v[4:5]
	v_add_f64 v[8:9], v[16:17], v[8:9]
	v_fmac_f64_e32 v[4:5], -0.5, v[8:9]
	v_lshlrev_b32_e32 v8, 4, v92
	v_sub_u32_e32 v1, v1, v8
	v_lshlrev_b32_e32 v0, 3, v88
	v_add_u32_e32 v96, v1, v93
	v_lshlrev_b32_e32 v1, 4, v90
	v_add3_u32 v95, 0, v93, v0
	v_sub_u32_e32 v1, v10, v1
	v_add3_u32 v94, 0, v0, v93
	v_add_f64 v[40:41], v[16:17], v[18:19]
	v_add_f64 v[6:7], v[6:7], -v[14:15]
	s_waitcnt lgkmcnt(0)
	s_barrier
	v_add_u32_e32 v97, v1, v93
	v_add_u32_e32 v98, 0x800, v94
	ds_read_b64 v[0:1], v95
	ds_read_b64 v[80:81], v96
	;; [unrolled: 1-line block ×3, first 2 shown]
	ds_read_b64 v[76:77], v94 offset:3888
	ds_read2_b64 v[18:21], v94 offset0:162 offset1:216
	ds_read2_b64 v[14:17], v98 offset0:14 offset1:68
	;; [unrolled: 1-line block ×3, first 2 shown]
	v_fma_f64 v[56:57], s[4:5], v[6:7], v[4:5]
	v_fmac_f64_e32 v[4:5], s[2:3], v[6:7]
	v_add_f64 v[6:7], v[26:27], v[30:31]
	s_waitcnt lgkmcnt(0)
	s_barrier
	ds_write_b64 v54, v[4:5] offset:16
	v_add_f64 v[4:5], v[30:31], v[12:13]
	v_add_f64 v[24:25], v[28:29], -v[24:25]
	v_fmac_f64_e32 v[12:13], -0.5, v[6:7]
	v_add_f64 v[4:5], v[26:27], v[4:5]
	v_fma_f64 v[6:7], s[4:5], v[24:25], v[12:13]
	ds_write2_b64 v54, v[40:41], v[56:57] offset1:1
	v_add_f64 v[28:29], v[38:39], v[34:35]
	ds_write2_b64 v52, v[4:5], v[6:7] offset1:1
	v_add_f64 v[4:5], v[50:51], v[46:47]
	v_add_f64 v[26:27], v[34:35], v[22:23]
	v_add_f64 v[30:31], v[32:33], -v[36:37]
	v_fmac_f64_e32 v[22:23], -0.5, v[28:29]
	v_fma_f64 v[74:75], -0.5, v[4:5], v[42:43]
	v_add_f64 v[4:5], v[44:45], -v[48:49]
	v_add_f64 v[26:27], v[38:39], v[26:27]
	v_fmac_f64_e32 v[12:13], s[2:3], v[24:25]
	v_fma_f64 v[24:25], s[4:5], v[30:31], v[22:23]
	v_fma_f64 v[6:7], s[4:5], v[4:5], v[74:75]
	v_fmac_f64_e32 v[74:75], s[2:3], v[4:5]
	v_add_u32_e32 v91, 0xa2, v88
	v_fmac_f64_e32 v[22:23], s[2:3], v[30:31]
	ds_write_b64 v52, v[12:13] offset:16
	ds_write2_b64 v53, v[26:27], v[24:25] offset1:1
	ds_write_b64 v53, v[22:23] offset:16
	s_and_saveexec_b64 s[2:3], s[0:1]
	s_cbranch_execz .LBB0_19
; %bb.18:
	v_add_f64 v[4:5], v[46:47], v[42:43]
	v_mul_u32_u24_e32 v12, 24, v91
	v_add_f64 v[4:5], v[50:51], v[4:5]
	v_add3_u32 v12, 0, v12, v93
	ds_write2_b64 v12, v[4:5], v[6:7] offset1:1
	ds_write_b64 v12, v[74:75] offset:16
.LBB0_19:
	s_or_b64 exec, exec, s[2:3]
	s_movk_i32 s2, 0xab
	v_mul_lo_u16_sdwa v4, v88, s2 dst_sel:DWORD dst_unused:UNUSED_PAD src0_sel:BYTE_0 src1_sel:DWORD
	v_lshrrev_b16_e32 v12, 9, v4
	v_mul_lo_u16_e32 v4, 3, v12
	v_sub_u16_e32 v13, v88, v4
	v_mov_b32_e32 v4, 9
	v_mul_u32_u24_sdwa v4, v13, v4 dst_sel:DWORD dst_unused:UNUSED_PAD src0_sel:BYTE_0 src1_sel:DWORD
	v_lshlrev_b32_e32 v4, 4, v4
	s_waitcnt lgkmcnt(0)
	s_barrier
	global_load_dwordx4 v[26:29], v4, s[8:9] offset:32
	global_load_dwordx4 v[22:25], v4, s[8:9] offset:48
	;; [unrolled: 1-line block ×4, first 2 shown]
	global_load_dwordx4 v[42:45], v4, s[8:9]
	global_load_dwordx4 v[34:37], v4, s[8:9] offset:16
	global_load_dwordx4 v[38:41], v4, s[8:9] offset:96
	;; [unrolled: 1-line block ×4, first 2 shown]
	ds_read2_b64 v[62:65], v94 offset0:162 offset1:216
	ds_read2_b64 v[66:69], v98 offset0:14 offset1:68
	;; [unrolled: 1-line block ×3, first 2 shown]
	ds_read_b64 v[100:101], v97
	ds_read_b64 v[4:5], v94 offset:3888
	ds_read_b64 v[102:103], v96
	ds_read_b64 v[82:83], v95
	s_mov_b32 s16, 0x134454ff
	s_mov_b32 s17, 0x3fee6f0e
	;; [unrolled: 1-line block ×12, first 2 shown]
	s_movk_i32 s2, 0xf0
	v_mad_u32_u24 v12, v12, s2, 0
	s_waitcnt lgkmcnt(0)
	s_barrier
	v_cmp_gt_u32_e64 s[2:3], 36, v88
	s_waitcnt vmcnt(8)
	v_mul_f64 v[104:105], v[62:63], v[28:29]
	v_mul_f64 v[28:29], v[18:19], v[28:29]
	s_waitcnt vmcnt(7)
	v_mul_f64 v[106:107], v[64:65], v[24:25]
	v_mul_f64 v[84:85], v[20:21], v[24:25]
	;; [unrolled: 3-line block ×4, first 2 shown]
	v_mul_f64 v[24:25], v[14:15], v[52:53]
	v_mul_f64 v[110:111], v[68:69], v[48:49]
	;; [unrolled: 1-line block ×3, first 2 shown]
	s_waitcnt vmcnt(2)
	v_mul_f64 v[116:117], v[58:59], v[40:41]
	v_mul_f64 v[36:37], v[8:9], v[40:41]
	s_waitcnt vmcnt(1)
	v_mul_f64 v[40:41], v[60:61], v[32:33]
	v_mul_f64 v[86:87], v[10:11], v[32:33]
	s_waitcnt vmcnt(0)
	v_mul_f64 v[32:33], v[4:5], v[56:57]
	v_fma_f64 v[18:19], v[18:19], v[26:27], -v[104:105]
	v_fmac_f64_e32 v[28:29], v[62:63], v[26:27]
	v_mul_f64 v[26:27], v[76:77], v[56:57]
	v_fma_f64 v[56:57], v[20:21], v[22:23], -v[106:107]
	v_fma_f64 v[20:21], v[80:81], v[42:43], -v[112:113]
	v_fmac_f64_e32 v[44:45], v[102:103], v[42:43]
	v_fma_f64 v[42:43], v[78:79], v[34:35], -v[114:115]
	v_mul_f64 v[48:49], v[16:17], v[48:49]
	v_fmac_f64_e32 v[84:85], v[64:65], v[22:23]
	v_fma_f64 v[22:23], v[16:17], v[46:47], -v[110:111]
	v_fma_f64 v[8:9], v[8:9], v[38:39], -v[116:117]
	v_fmac_f64_e32 v[36:37], v[58:59], v[38:39]
	v_fma_f64 v[38:39], v[10:11], v[30:31], -v[40:41]
	v_fmac_f64_e32 v[26:27], v[4:5], v[54:55]
	v_add_f64 v[4:5], v[0:1], v[42:43]
	v_fmac_f64_e32 v[48:49], v[68:69], v[46:47]
	v_add_f64 v[16:17], v[56:57], v[22:23]
	v_add_f64 v[46:47], v[42:43], v[38:39]
	;; [unrolled: 1-line block ×3, first 2 shown]
	v_fmac_f64_e32 v[52:53], v[100:101], v[34:35]
	v_fmac_f64_e32 v[86:87], v[60:61], v[30:31]
	v_fma_f64 v[10:11], v[76:77], v[54:55], -v[32:33]
	v_add_f64 v[32:33], v[84:85], -v[48:49]
	v_fma_f64 v[16:17], -0.5, v[16:17], v[0:1]
	v_fmac_f64_e32 v[0:1], -0.5, v[46:47]
	v_add_f64 v[4:5], v[4:5], v[22:23]
	v_fma_f64 v[14:15], v[14:15], v[50:51], -v[108:109]
	v_fmac_f64_e32 v[24:25], v[66:67], v[50:51]
	v_add_f64 v[30:31], v[52:53], -v[86:87]
	v_add_f64 v[50:51], v[56:57], -v[42:43]
	v_fma_f64 v[62:63], s[12:13], v[32:33], v[0:1]
	v_add_f64 v[64:65], v[4:5], v[38:39]
	v_add_f64 v[4:5], v[22:23], -v[38:39]
	v_fmac_f64_e32 v[0:1], s[16:17], v[32:33]
	v_fmac_f64_e32 v[62:63], s[10:11], v[30:31]
	v_add_f64 v[4:5], v[50:51], v[4:5]
	v_fmac_f64_e32 v[0:1], s[14:15], v[30:31]
	v_fmac_f64_e32 v[62:63], s[4:5], v[4:5]
	;; [unrolled: 1-line block ×3, first 2 shown]
	v_add_f64 v[4:5], v[20:21], v[18:19]
	v_add_f64 v[34:35], v[42:43], -v[56:57]
	v_add_f64 v[40:41], v[38:39], -v[22:23]
	v_add_f64 v[4:5], v[4:5], v[14:15]
	v_add_f64 v[34:35], v[34:35], v[40:41]
	v_fma_f64 v[40:41], s[16:17], v[30:31], v[16:17]
	v_fmac_f64_e32 v[16:17], s[12:13], v[30:31]
	v_add_f64 v[4:5], v[4:5], v[8:9]
	v_fmac_f64_e32 v[40:41], s[10:11], v[32:33]
	v_fmac_f64_e32 v[16:17], s[14:15], v[32:33]
	v_add_f64 v[32:33], v[4:5], v[10:11]
	v_add_f64 v[4:5], v[14:15], v[8:9]
	v_fmac_f64_e32 v[40:41], s[4:5], v[34:35]
	v_fmac_f64_e32 v[16:17], s[4:5], v[34:35]
	v_fma_f64 v[4:5], -0.5, v[4:5], v[20:21]
	v_add_f64 v[34:35], v[28:29], -v[26:27]
	v_fma_f64 v[30:31], s[16:17], v[34:35], v[4:5]
	v_add_f64 v[50:51], v[24:25], -v[36:37]
	v_add_f64 v[46:47], v[18:19], -v[14:15]
	;; [unrolled: 1-line block ×3, first 2 shown]
	v_fmac_f64_e32 v[4:5], s[12:13], v[34:35]
	v_fmac_f64_e32 v[30:31], s[10:11], v[50:51]
	v_add_f64 v[46:47], v[46:47], v[54:55]
	v_fmac_f64_e32 v[4:5], s[14:15], v[50:51]
	v_fmac_f64_e32 v[30:31], s[4:5], v[46:47]
	;; [unrolled: 1-line block ×3, first 2 shown]
	v_add_f64 v[46:47], v[18:19], v[10:11]
	v_fmac_f64_e32 v[20:21], -0.5, v[46:47]
	v_fma_f64 v[46:47], s[12:13], v[50:51], v[20:21]
	v_fmac_f64_e32 v[20:21], s[16:17], v[50:51]
	v_fmac_f64_e32 v[46:47], s[10:11], v[34:35]
	v_add_f64 v[54:55], v[14:15], -v[18:19]
	v_add_f64 v[58:59], v[8:9], -v[10:11]
	v_fmac_f64_e32 v[20:21], s[14:15], v[34:35]
	v_add_f64 v[34:35], v[24:25], v[36:37]
	v_add_f64 v[54:55], v[54:55], v[58:59]
	v_fma_f64 v[50:51], -0.5, v[34:35], v[44:45]
	v_add_f64 v[10:11], v[18:19], -v[10:11]
	v_fmac_f64_e32 v[46:47], s[4:5], v[54:55]
	v_fmac_f64_e32 v[20:21], s[4:5], v[54:55]
	v_fma_f64 v[54:55], s[12:13], v[10:11], v[50:51]
	v_add_f64 v[8:9], v[14:15], -v[8:9]
	v_add_f64 v[14:15], v[28:29], -v[24:25]
	;; [unrolled: 1-line block ×3, first 2 shown]
	v_fmac_f64_e32 v[50:51], s[16:17], v[10:11]
	v_fmac_f64_e32 v[54:55], s[14:15], v[8:9]
	v_add_f64 v[14:15], v[14:15], v[18:19]
	v_fmac_f64_e32 v[50:51], s[10:11], v[8:9]
	v_fmac_f64_e32 v[54:55], s[4:5], v[14:15]
	;; [unrolled: 1-line block ×3, first 2 shown]
	v_add_f64 v[14:15], v[28:29], v[26:27]
	v_fma_f64 v[58:59], -0.5, v[14:15], v[44:45]
	v_fma_f64 v[60:61], s[16:17], v[8:9], v[58:59]
	v_add_f64 v[14:15], v[24:25], -v[28:29]
	v_add_f64 v[18:19], v[36:37], -v[26:27]
	v_fmac_f64_e32 v[58:59], s[12:13], v[8:9]
	v_add_f64 v[14:15], v[14:15], v[18:19]
	v_fmac_f64_e32 v[58:59], s[10:11], v[10:11]
	v_fmac_f64_e32 v[60:61], s[14:15], v[10:11]
	v_fmac_f64_e32 v[58:59], s[4:5], v[14:15]
	v_mul_f64 v[10:11], v[20:21], s[4:5]
	v_fma_f64 v[34:35], v[58:59], s[16:17], -v[10:11]
	v_add_f64 v[10:11], v[0:1], -v[34:35]
	v_add_f64 v[66:67], v[0:1], v[34:35]
	v_mul_f64 v[0:1], v[4:5], s[18:19]
	v_fma_f64 v[34:35], v[50:51], s[10:11], -v[0:1]
	v_add_f64 v[0:1], v[16:17], -v[34:35]
	v_add_f64 v[16:17], v[16:17], v[34:35]
	v_mul_f64 v[34:35], v[54:55], s[10:11]
	v_fmac_f64_e32 v[60:61], s[4:5], v[14:15]
	v_fmac_f64_e32 v[34:35], s[18:19], v[30:31]
	v_add_f64 v[14:15], v[64:65], v[32:33]
	v_mul_f64 v[8:9], v[60:61], s[16:17]
	v_add_f64 v[32:33], v[64:65], -v[32:33]
	v_add_f64 v[64:65], v[40:41], v[34:35]
	v_add_f64 v[34:35], v[40:41], -v[34:35]
	v_mov_b32_e32 v40, 3
	v_fmac_f64_e32 v[8:9], s[4:5], v[46:47]
	v_lshlrev_b32_sdwa v13, v40, v13 dst_sel:DWORD dst_unused:UNUSED_PAD src0_sel:DWORD src1_sel:BYTE_0
	v_add_f64 v[18:19], v[62:63], v[8:9]
	v_add_f64 v[8:9], v[62:63], -v[8:9]
	v_add3_u32 v62, v12, v13, v93
	ds_write2_b64 v62, v[14:15], v[64:65] offset1:3
	ds_write2_b64 v62, v[18:19], v[66:67] offset0:6 offset1:9
	ds_write2_b64 v62, v[16:17], v[32:33] offset0:12 offset1:15
	;; [unrolled: 1-line block ×4, first 2 shown]
	s_waitcnt lgkmcnt(0)
	s_barrier
	ds_read2_b64 v[16:19], v94 offset0:90 offset1:180
	ds_read2_b64 v[12:15], v98 offset0:14 offset1:104
	ds_read_b64 v[32:33], v95
	ds_read_b64 v[40:41], v94 offset:3600
	s_and_saveexec_b64 s[20:21], s[2:3]
	s_cbranch_execz .LBB0_21
; %bb.20:
	v_add_u32_e32 v0, 0x800, v94
	ds_read2_b64 v[8:11], v94 offset0:144 offset1:234
	ds_read2_b64 v[0:3], v0 offset0:68 offset1:158
	ds_read_b64 v[34:35], v96
	ds_read_b64 v[72:73], v94 offset:4032
.LBB0_21:
	s_or_b64 exec, exec, s[20:21]
	v_add_f64 v[66:67], v[84:85], v[48:49]
	v_fma_f64 v[66:67], -0.5, v[66:67], v[82:83]
	v_add_f64 v[38:39], v[42:43], -v[38:39]
	v_fma_f64 v[42:43], s[12:13], v[38:39], v[66:67]
	v_add_f64 v[22:23], v[56:57], -v[22:23]
	v_add_f64 v[56:57], v[52:53], -v[84:85]
	v_add_f64 v[68:69], v[86:87], -v[48:49]
	v_fmac_f64_e32 v[66:67], s[16:17], v[38:39]
	v_fmac_f64_e32 v[42:43], s[14:15], v[22:23]
	v_add_f64 v[56:57], v[56:57], v[68:69]
	v_fmac_f64_e32 v[66:67], s[10:11], v[22:23]
	v_fmac_f64_e32 v[42:43], s[4:5], v[56:57]
	;; [unrolled: 1-line block ×3, first 2 shown]
	v_add_f64 v[56:57], v[52:53], v[86:87]
	v_add_f64 v[64:65], v[82:83], v[52:53]
	v_fmac_f64_e32 v[82:83], -0.5, v[56:57]
	v_fma_f64 v[56:57], s[16:17], v[22:23], v[82:83]
	v_fmac_f64_e32 v[82:83], s[12:13], v[22:23]
	v_add_f64 v[22:23], v[44:45], v[28:29]
	v_add_f64 v[64:65], v[64:65], v[84:85]
	;; [unrolled: 1-line block ×4, first 2 shown]
	v_add_f64 v[52:53], v[84:85], -v[52:53]
	v_add_f64 v[48:49], v[48:49], -v[86:87]
	v_add_f64 v[22:23], v[22:23], v[36:37]
	v_fmac_f64_e32 v[56:57], s[14:15], v[38:39]
	v_add_f64 v[48:49], v[52:53], v[48:49]
	v_fmac_f64_e32 v[82:83], s[10:11], v[38:39]
	v_add_f64 v[22:23], v[22:23], v[26:27]
	v_mul_f64 v[26:27], v[30:31], s[14:15]
	v_mul_f64 v[30:31], v[46:47], s[12:13]
	;; [unrolled: 1-line block ×3, first 2 shown]
	v_add_f64 v[64:65], v[64:65], v[86:87]
	v_fmac_f64_e32 v[56:57], s[4:5], v[48:49]
	v_fmac_f64_e32 v[82:83], s[4:5], v[48:49]
	;; [unrolled: 1-line block ×4, first 2 shown]
	v_fma_f64 v[44:45], v[20:21], s[12:13], -v[36:37]
	v_mul_f64 v[20:21], v[50:51], s[18:19]
	v_add_f64 v[24:25], v[64:65], v[22:23]
	v_add_f64 v[28:29], v[42:43], v[26:27]
	v_add_f64 v[38:39], v[56:57], v[30:31]
	v_add_f64 v[46:47], v[82:83], v[44:45]
	v_fma_f64 v[4:5], v[4:5], s[14:15], -v[20:21]
	v_add_f64 v[50:51], v[64:65], -v[22:23]
	v_add_f64 v[22:23], v[82:83], -v[44:45]
	v_add_u32_e32 v44, 0x800, v94
	v_add_f64 v[48:49], v[66:67], v[4:5]
	v_add_f64 v[36:37], v[42:43], -v[26:27]
	v_add_f64 v[20:21], v[56:57], -v[30:31]
	;; [unrolled: 1-line block ×3, first 2 shown]
	s_waitcnt lgkmcnt(0)
	s_barrier
	ds_write2_b64 v62, v[24:25], v[28:29] offset1:3
	ds_write2_b64 v62, v[38:39], v[46:47] offset0:6 offset1:9
	ds_write2_b64 v62, v[48:49], v[50:51] offset0:12 offset1:15
	;; [unrolled: 1-line block ×4, first 2 shown]
	s_waitcnt lgkmcnt(0)
	s_barrier
	ds_read2_b64 v[28:31], v94 offset0:90 offset1:180
	ds_read2_b64 v[24:27], v44 offset0:14 offset1:104
	ds_read_b64 v[38:39], v95
	ds_read_b64 v[42:43], v94 offset:3600
	s_and_saveexec_b64 s[4:5], s[2:3]
	s_cbranch_execz .LBB0_23
; %bb.22:
	ds_read2_b64 v[20:23], v94 offset0:144 offset1:234
	ds_read2_b64 v[4:7], v44 offset0:68 offset1:158
	ds_read_b64 v[36:37], v96
	ds_read_b64 v[74:75], v94 offset:4032
.LBB0_23:
	s_or_b64 exec, exec, s[4:5]
	v_subrev_u32_e32 v44, 30, v88
	v_cmp_gt_u32_e64 s[4:5], 30, v88
	v_mov_b32_e32 v45, 0
	s_mov_b32 s11, 0xbfebb67a
	v_cndmask_b32_e64 v114, v44, v88, s[4:5]
	v_mul_i32_i24_e32 v44, 5, v114
	v_lshl_add_u64 v[48:49], v[44:45], 4, s[8:9]
	s_movk_i32 s4, 0x89
	global_load_dwordx4 v[44:47], v[48:49], off offset:432
	global_load_dwordx4 v[58:61], v[48:49], off offset:448
	global_load_dwordx4 v[62:65], v[48:49], off offset:464
	global_load_dwordx4 v[66:69], v[48:49], off offset:480
	global_load_dwordx4 v[78:81], v[48:49], off offset:496
	v_mul_lo_u16_sdwa v49, v92, s4 dst_sel:DWORD dst_unused:UNUSED_PAD src0_sel:BYTE_0 src1_sel:DWORD
	v_lshrrev_b16_e32 v76, 12, v49
	v_mul_lo_u16_e32 v49, 30, v76
	v_mov_b32_e32 v48, 5
	v_sub_u16_e32 v77, v92, v49
	v_mul_u32_u24_sdwa v48, v77, v48 dst_sel:DWORD dst_unused:UNUSED_PAD src0_sel:BYTE_0 src1_sel:DWORD
	v_lshlrev_b32_e32 v48, 4, v48
	global_load_dwordx4 v[82:85], v48, s[8:9] offset:432
	global_load_dwordx4 v[98:101], v48, s[8:9] offset:448
	global_load_dwordx4 v[102:105], v48, s[8:9] offset:464
	global_load_dwordx4 v[106:109], v48, s[8:9] offset:480
	global_load_dwordx4 v[110:113], v48, s[8:9] offset:496
	s_mov_b32 s4, 0xe8584caa
	s_mov_b32 s5, 0x3febb67a
	s_mov_b32 s10, s4
	s_waitcnt lgkmcnt(0)
	s_barrier
	s_waitcnt vmcnt(9)
	v_mul_f64 v[48:49], v[28:29], v[46:47]
	v_mul_f64 v[46:47], v[16:17], v[46:47]
	s_waitcnt vmcnt(7)
	v_mul_f64 v[50:51], v[12:13], v[64:65]
	v_mul_f64 v[86:87], v[30:31], v[60:61]
	;; [unrolled: 3-line block ×3, first 2 shown]
	v_mul_f64 v[60:61], v[24:25], v[64:65]
	v_mul_f64 v[64:65], v[26:27], v[68:69]
	;; [unrolled: 1-line block ×4, first 2 shown]
	v_fmac_f64_e32 v[50:51], v[24:25], v[62:63]
	v_fmac_f64_e32 v[52:53], v[42:43], v[78:79]
	v_fma_f64 v[48:49], v[16:17], v[44:45], -v[48:49]
	v_fmac_f64_e32 v[46:47], v[28:29], v[44:45]
	v_fma_f64 v[12:13], v[12:13], v[62:63], -v[60:61]
	v_fma_f64 v[24:25], v[14:15], v[66:67], -v[64:65]
	;; [unrolled: 1-line block ×3, first 2 shown]
	v_add_f64 v[60:61], v[50:51], v[52:53]
	v_fma_f64 v[28:29], v[18:19], v[58:59], -v[86:87]
	v_fmac_f64_e32 v[54:55], v[30:31], v[58:59]
	v_fmac_f64_e32 v[56:57], v[26:27], v[66:67]
	v_add_f64 v[42:43], v[48:49], v[12:13]
	v_add_f64 v[44:45], v[12:13], v[14:15]
	v_add_f64 v[12:13], v[12:13], -v[14:15]
	s_waitcnt vmcnt(3)
	v_mul_f64 v[30:31], v[10:11], v[100:101]
	v_fma_f64 v[66:67], -0.5, v[60:61], v[46:47]
	v_add_f64 v[18:19], v[28:29], v[24:25]
	v_add_f64 v[68:69], v[50:51], -v[52:53]
	v_mul_f64 v[26:27], v[8:9], v[84:85]
	v_mul_f64 v[80:81], v[22:23], v[100:101]
	s_waitcnt vmcnt(1)
	v_mul_f64 v[64:65], v[2:3], v[108:109]
	v_fmac_f64_e32 v[48:49], -0.5, v[44:45]
	v_fmac_f64_e32 v[30:31], v[22:23], v[98:99]
	v_fma_f64 v[22:23], s[10:11], v[12:13], v[66:67]
	v_add_f64 v[16:17], v[32:33], v[28:29]
	v_add_f64 v[40:41], v[54:55], -v[56:57]
	v_mul_f64 v[78:79], v[20:21], v[84:85]
	v_mul_f64 v[58:59], v[0:1], v[104:105]
	;; [unrolled: 1-line block ×3, first 2 shown]
	v_fmac_f64_e32 v[32:33], -0.5, v[18:19]
	v_fmac_f64_e32 v[26:27], v[20:21], v[82:83]
	v_fma_f64 v[20:21], v[10:11], v[98:99], -v[80:81]
	v_fmac_f64_e32 v[64:65], v[6:7], v[106:107]
	v_fma_f64 v[6:7], s[4:5], v[68:69], v[48:49]
	v_fmac_f64_e32 v[48:49], s[10:11], v[68:69]
	v_mul_f64 v[10:11], v[22:23], s[4:5]
	v_mul_f64 v[84:85], v[4:5], v[104:105]
	s_waitcnt vmcnt(0)
	v_mul_f64 v[18:19], v[74:75], v[112:113]
	v_fma_f64 v[60:61], v[8:9], v[82:83], -v[78:79]
	v_fmac_f64_e32 v[58:59], v[4:5], v[102:103]
	v_fma_f64 v[4:5], v[2:3], v[106:107], -v[86:87]
	v_fma_f64 v[8:9], s[4:5], v[40:41], v[32:33]
	v_fmac_f64_e32 v[66:67], s[4:5], v[12:13]
	v_mul_f64 v[12:13], v[48:49], -0.5
	v_fmac_f64_e32 v[10:11], 0.5, v[6:7]
	v_add_f64 v[14:15], v[42:43], v[14:15]
	v_mul_f64 v[62:63], v[72:73], v[112:113]
	v_add_f64 v[16:17], v[16:17], v[24:25]
	v_fma_f64 v[0:1], v[0:1], v[102:103], -v[84:85]
	v_fma_f64 v[2:3], v[72:73], v[110:111], -v[18:19]
	v_fmac_f64_e32 v[32:33], s[10:11], v[40:41]
	v_add_f64 v[40:41], v[8:9], v[10:11]
	v_fmac_f64_e32 v[12:13], s[4:5], v[66:67]
	v_add_f64 v[80:81], v[8:9], -v[10:11]
	v_add_f64 v[10:11], v[20:21], v[4:5]
	v_fmac_f64_e32 v[62:63], v[74:75], v[110:111]
	v_add_f64 v[18:19], v[16:17], v[14:15]
	v_add_f64 v[42:43], v[32:33], v[12:13]
	v_add_f64 v[44:45], v[16:17], -v[14:15]
	v_add_f64 v[82:83], v[32:33], -v[12:13]
	v_add_f64 v[8:9], v[34:35], v[20:21]
	v_fmac_f64_e32 v[34:35], -0.5, v[10:11]
	v_add_f64 v[12:13], v[30:31], -v[64:65]
	v_add_f64 v[14:15], v[0:1], v[2:3]
	v_fma_f64 v[10:11], s[4:5], v[12:13], v[34:35]
	v_fmac_f64_e32 v[34:35], s[10:11], v[12:13]
	v_add_f64 v[12:13], v[60:61], v[0:1]
	v_fmac_f64_e32 v[60:61], -0.5, v[14:15]
	v_add_f64 v[14:15], v[58:59], -v[62:63]
	v_fma_f64 v[68:69], s[4:5], v[14:15], v[60:61]
	v_fmac_f64_e32 v[60:61], s[10:11], v[14:15]
	v_add_f64 v[14:15], v[58:59], v[62:63]
	v_fma_f64 v[72:73], -0.5, v[14:15], v[26:27]
	v_add_f64 v[0:1], v[0:1], -v[2:3]
	v_fma_f64 v[74:75], s[10:11], v[0:1], v[72:73]
	v_fmac_f64_e32 v[72:73], s[4:5], v[0:1]
	v_mul_f64 v[16:17], v[60:61], -0.5
	v_mul_f64 v[14:15], v[74:75], s[4:5]
	v_fmac_f64_e32 v[16:17], s[4:5], v[72:73]
	v_mov_b32_e32 v78, 0x5a0
	v_cmp_lt_u32_e64 s[4:5], 29, v88
	v_add_f64 v[8:9], v[8:9], v[4:5]
	v_add_f64 v[12:13], v[12:13], v[2:3]
	v_cndmask_b32_e64 v78, 0, v78, s[4:5]
	v_fmac_f64_e32 v[14:15], 0.5, v[68:69]
	v_add_u32_e32 v78, 0, v78
	v_lshlrev_b32_e32 v79, 3, v114
	v_add_f64 v[0:1], v[8:9], -v[12:13]
	v_add_f64 v[2:3], v[10:11], -v[14:15]
	v_add_f64 v[32:33], v[34:35], -v[16:17]
	s_movk_i32 s10, 0x5a0
	v_add3_u32 v78, v78, v79, v93
	ds_write2_b64 v78, v[18:19], v[40:41] offset1:30
	ds_write2_b64 v78, v[42:43], v[44:45] offset0:60 offset1:90
	ds_write2_b64 v78, v[80:81], v[82:83] offset0:120 offset1:150
	s_and_saveexec_b64 s[4:5], s[2:3]
	s_cbranch_execz .LBB0_25
; %bb.24:
	v_add_f64 v[8:9], v[8:9], v[12:13]
	v_mov_b32_e32 v13, 3
	v_mad_u32_u24 v12, v76, s10, 0
	v_lshlrev_b32_sdwa v13, v13, v77 dst_sel:DWORD dst_unused:UNUSED_PAD src0_sel:DWORD src1_sel:BYTE_0
	v_add_f64 v[10:11], v[10:11], v[14:15]
	v_add3_u32 v12, v12, v13, v93
	v_add_f64 v[16:17], v[34:35], v[16:17]
	ds_write2_b64 v12, v[8:9], v[10:11] offset1:30
	ds_write2_b64 v12, v[16:17], v[0:1] offset0:60 offset1:90
	ds_write2_b64 v12, v[2:3], v[32:33] offset0:120 offset1:150
.LBB0_25:
	s_or_b64 exec, exec, s[4:5]
	v_add_u32_e32 v16, 0x800, v94
	s_waitcnt lgkmcnt(0)
	s_barrier
	ds_read2_b64 v[8:11], v94 offset0:180 offset1:234
	ds_read2_b64 v[12:15], v16 offset0:32 offset1:104
	ds_read2_b64 v[16:19], v16 offset0:158 offset1:212
	ds_read_b64 v[40:41], v95
	ds_read_b64 v[42:43], v96
	;; [unrolled: 1-line block ×3, first 2 shown]
	s_and_saveexec_b64 s[4:5], s[0:1]
	s_cbranch_execz .LBB0_27
; %bb.26:
	v_add_u32_e32 v0, 0x400, v94
	ds_read2_b64 v[0:3], v0 offset0:34 offset1:214
	ds_read_b64 v[32:33], v94 offset:4176
.LBB0_27:
	s_or_b64 exec, exec, s[4:5]
	s_mov_b32 s4, 0xe8584caa
	v_add_f64 v[34:35], v[38:39], v[54:55]
	v_add_f64 v[54:55], v[54:55], v[56:57]
	s_mov_b32 s5, 0xbfebb67a
	v_fmac_f64_e32 v[38:39], -0.5, v[54:55]
	v_add_f64 v[24:25], v[28:29], -v[24:25]
	v_mul_f64 v[6:7], v[6:7], s[4:5]
	v_fma_f64 v[28:29], s[4:5], v[24:25], v[38:39]
	s_mov_b32 s11, 0x3febb67a
	s_mov_b32 s10, s4
	v_fmac_f64_e32 v[6:7], 0.5, v[22:23]
	v_mul_f64 v[22:23], v[66:67], -0.5
	v_fmac_f64_e32 v[38:39], s[10:11], v[24:25]
	v_add_f64 v[24:25], v[46:47], v[50:51]
	v_add_f64 v[50:51], v[28:29], v[6:7]
	v_fmac_f64_e32 v[22:23], s[4:5], v[48:49]
	v_add_f64 v[54:55], v[28:29], -v[6:7]
	v_add_f64 v[6:7], v[36:37], v[30:31]
	v_add_f64 v[48:49], v[38:39], v[22:23]
	v_add_f64 v[38:39], v[38:39], -v[22:23]
	v_add_f64 v[22:23], v[6:7], v[64:65]
	v_add_f64 v[6:7], v[30:31], v[64:65]
	v_fmac_f64_e32 v[36:37], -0.5, v[6:7]
	v_add_f64 v[4:5], v[20:21], -v[4:5]
	v_add_f64 v[34:35], v[34:35], v[56:57]
	v_add_f64 v[24:25], v[24:25], v[52:53]
	v_fma_f64 v[20:21], s[4:5], v[4:5], v[36:37]
	v_fmac_f64_e32 v[36:37], s[10:11], v[4:5]
	v_add_f64 v[4:5], v[26:27], v[58:59]
	v_mul_f64 v[26:27], v[68:69], s[4:5]
	v_mul_f64 v[28:29], v[72:73], -0.5
	v_add_f64 v[46:47], v[34:35], v[24:25]
	v_add_f64 v[52:53], v[34:35], -v[24:25]
	v_add_f64 v[24:25], v[4:5], v[62:63]
	v_fmac_f64_e32 v[26:27], 0.5, v[74:75]
	v_fmac_f64_e32 v[28:29], s[4:5], v[60:61]
	v_add_f64 v[4:5], v[22:23], -v[24:25]
	v_add_f64 v[6:7], v[20:21], -v[26:27]
	v_add_f64 v[34:35], v[36:37], -v[28:29]
	s_waitcnt lgkmcnt(0)
	s_barrier
	ds_write2_b64 v78, v[46:47], v[50:51] offset1:30
	ds_write2_b64 v78, v[48:49], v[52:53] offset0:60 offset1:90
	ds_write2_b64 v78, v[54:55], v[38:39] offset0:120 offset1:150
	s_and_saveexec_b64 s[4:5], s[2:3]
	s_cbranch_execz .LBB0_29
; %bb.28:
	v_add_f64 v[20:21], v[20:21], v[26:27]
	s_movk_i32 s2, 0x5a0
	v_mov_b32_e32 v27, 3
	v_mad_u32_u24 v26, v76, s2, 0
	v_lshlrev_b32_sdwa v27, v27, v77 dst_sel:DWORD dst_unused:UNUSED_PAD src0_sel:DWORD src1_sel:BYTE_0
	v_add_f64 v[22:23], v[22:23], v[24:25]
	v_add3_u32 v26, v26, v27, v93
	v_add_f64 v[24:25], v[36:37], v[28:29]
	ds_write2_b64 v26, v[22:23], v[20:21] offset1:30
	ds_write2_b64 v26, v[24:25], v[4:5] offset0:60 offset1:90
	ds_write2_b64 v26, v[6:7], v[34:35] offset0:120 offset1:150
.LBB0_29:
	s_or_b64 exec, exec, s[4:5]
	v_add_u32_e32 v28, 0x800, v94
	s_waitcnt lgkmcnt(0)
	s_barrier
	ds_read2_b64 v[20:23], v94 offset0:180 offset1:234
	ds_read2_b64 v[24:27], v28 offset0:32 offset1:104
	;; [unrolled: 1-line block ×3, first 2 shown]
	ds_read_b64 v[38:39], v95
	ds_read_b64 v[46:47], v96
	;; [unrolled: 1-line block ×3, first 2 shown]
	s_and_saveexec_b64 s[2:3], s[0:1]
	s_cbranch_execz .LBB0_31
; %bb.30:
	v_add_u32_e32 v4, 0x400, v94
	ds_read2_b64 v[4:7], v4 offset0:34 offset1:214
	ds_read_b64 v[34:35], v94 offset:4176
.LBB0_31:
	s_or_b64 exec, exec, s[2:3]
	s_and_saveexec_b64 s[2:3], vcc
	s_cbranch_execz .LBB0_34
; %bb.32:
	v_lshlrev_b32_e32 v36, 1, v90
	v_mov_b32_e32 v37, 0
	v_lshl_add_u64 v[58:59], v[36:37], 4, s[8:9]
	v_lshlrev_b32_e32 v36, 1, v92
	global_load_dwordx4 v[50:53], v[58:59], off offset:2832
	global_load_dwordx4 v[54:57], v[58:59], off offset:2848
	v_lshl_add_u64 v[66:67], v[36:37], 4, s[8:9]
	v_lshlrev_b32_e32 v36, 1, v88
	global_load_dwordx4 v[58:61], v[66:67], off offset:2832
	global_load_dwordx4 v[62:65], v[66:67], off offset:2848
	v_lshl_add_u64 v[76:77], v[36:37], 4, s[8:9]
	global_load_dwordx4 v[66:69], v[76:77], off offset:2832
	global_load_dwordx4 v[72:75], v[76:77], off offset:2848
	v_mad_u64_u32 v[76:77], s[10:11], s6, v88, 0
	v_mov_b32_e32 v36, v77
	v_mad_u64_u32 v[78:79], s[10:11], s7, v88, v[36:37]
	v_mov_b32_e32 v77, v78
	s_mov_b32 s2, 0xe8584caa
	s_mov_b32 s3, 0x3febb67a
	;; [unrolled: 1-line block ×4, first 2 shown]
	s_movk_i32 s12, 0x168
	s_waitcnt vmcnt(5) lgkmcnt(4)
	v_mul_f64 v[78:79], v[24:25], v[52:53]
	s_waitcnt vmcnt(4) lgkmcnt(3)
	v_mul_f64 v[80:81], v[30:31], v[56:57]
	v_mul_f64 v[52:53], v[12:13], v[52:53]
	;; [unrolled: 1-line block ×3, first 2 shown]
	v_fma_f64 v[12:13], v[12:13], v[50:51], -v[78:79]
	v_fma_f64 v[78:79], v[18:19], v[54:55], -v[80:81]
	v_fmac_f64_e32 v[52:53], v[24:25], v[50:51]
	v_fmac_f64_e32 v[56:57], v[30:31], v[54:55]
	s_waitcnt vmcnt(3)
	v_mul_f64 v[18:19], v[22:23], v[60:61]
	s_waitcnt vmcnt(2)
	v_mul_f64 v[24:25], v[28:29], v[64:65]
	v_mul_f64 v[30:31], v[10:11], v[60:61]
	;; [unrolled: 1-line block ×3, first 2 shown]
	v_add_f64 v[60:61], v[52:53], v[56:57]
	s_waitcnt lgkmcnt(0)
	v_add_f64 v[64:65], v[48:49], v[52:53]
	v_add_f64 v[80:81], v[12:13], v[78:79]
	v_fma_f64 v[84:85], v[10:11], v[58:59], -v[18:19]
	v_fma_f64 v[86:87], v[16:17], v[62:63], -v[24:25]
	v_fmac_f64_e32 v[30:31], v[22:23], v[58:59]
	s_waitcnt vmcnt(1)
	v_mul_f64 v[22:23], v[20:21], v[68:69]
	s_waitcnt vmcnt(0)
	v_mul_f64 v[24:25], v[26:27], v[74:75]
	v_mul_f64 v[58:59], v[8:9], v[68:69]
	v_add_f64 v[54:55], v[12:13], -v[78:79]
	v_add_f64 v[52:53], v[52:53], -v[56:57]
	v_add_f64 v[82:83], v[44:45], v[12:13]
	v_fmac_f64_e32 v[50:51], v[28:29], v[62:63]
	v_mul_f64 v[62:63], v[14:15], v[74:75]
	v_fma_f64 v[12:13], -0.5, v[60:61], v[48:49]
	v_add_f64 v[18:19], v[64:65], v[56:57]
	v_fma_f64 v[10:11], -0.5, v[80:81], v[44:45]
	v_add_f64 v[44:45], v[46:47], v[30:31]
	v_add_f64 v[56:57], v[84:85], v[86:87]
	v_fma_f64 v[8:9], v[8:9], v[66:67], -v[22:23]
	v_fma_f64 v[14:15], v[14:15], v[72:73], -v[24:25]
	v_fmac_f64_e32 v[58:59], v[20:21], v[66:67]
	v_add_f64 v[28:29], v[30:31], v[50:51]
	v_add_f64 v[60:61], v[30:31], -v[50:51]
	v_fmac_f64_e32 v[62:63], v[26:27], v[72:73]
	v_fma_f64 v[22:23], s[2:3], v[54:55], v[12:13]
	v_fmac_f64_e32 v[12:13], s[4:5], v[54:55]
	v_add_f64 v[30:31], v[44:45], v[50:51]
	v_fma_f64 v[24:25], -0.5, v[56:57], v[42:43]
	v_add_f64 v[54:55], v[8:9], -v[14:15]
	v_add_f64 v[50:51], v[38:39], v[58:59]
	v_add_f64 v[56:57], v[8:9], v[14:15]
	;; [unrolled: 1-line block ×3, first 2 shown]
	v_fma_f64 v[20:21], s[4:5], v[52:53], v[10:11]
	v_fmac_f64_e32 v[10:11], s[2:3], v[52:53]
	v_add_f64 v[52:53], v[50:51], v[62:63]
	v_add_f64 v[50:51], v[8:9], v[14:15]
	v_lshl_add_u64 v[8:9], v[76:77], 4, v[70:71]
	v_add_u32_e32 v15, 0xb4, v88
	global_store_dwordx4 v[8:9], v[50:53], off
	v_mad_u64_u32 v[8:9], s[10:11], s6, v15, 0
	v_mov_b32_e32 v14, v9
	v_add_f64 v[48:49], v[84:85], -v[86:87]
	v_fma_f64 v[26:27], -0.5, v[28:29], v[46:47]
	v_add_f64 v[46:47], v[58:59], v[62:63]
	v_mad_u64_u32 v[14:15], s[10:11], s7, v15, v[14:15]
	v_add_f64 v[58:59], v[58:59], -v[62:63]
	v_fma_f64 v[44:45], s[2:3], v[48:49], v[26:27]
	v_fmac_f64_e32 v[26:27], s[4:5], v[48:49]
	v_fma_f64 v[48:49], -0.5, v[46:47], v[38:39]
	v_fma_f64 v[46:47], -0.5, v[56:57], v[40:41]
	v_mov_b32_e32 v9, v14
	v_fma_f64 v[40:41], s[2:3], v[54:55], v[48:49]
	v_fmac_f64_e32 v[48:49], s[4:5], v[54:55]
	v_fma_f64 v[38:39], s[4:5], v[58:59], v[46:47]
	v_fmac_f64_e32 v[46:47], s[2:3], v[58:59]
	v_lshl_add_u64 v[8:9], v[8:9], 4, v[70:71]
	v_add_u32_e32 v15, 0x168, v88
	global_store_dwordx4 v[8:9], v[46:49], off
	v_mad_u64_u32 v[8:9], s[10:11], s6, v15, 0
	v_mov_b32_e32 v14, v9
	v_mad_u64_u32 v[14:15], s[10:11], s7, v15, v[14:15]
	v_mov_b32_e32 v9, v14
	v_lshl_add_u64 v[8:9], v[8:9], 4, v[70:71]
	global_store_dwordx4 v[8:9], v[38:41], off
	v_mad_u64_u32 v[8:9], s[10:11], s6, v89, 0
	v_mov_b32_e32 v14, v9
	v_mad_u64_u32 v[14:15], s[10:11], s7, v89, v[14:15]
	v_add_f64 v[64:65], v[42:43], v[84:85]
	v_mov_b32_e32 v9, v14
	v_add_f64 v[28:29], v[64:65], v[86:87]
	v_lshl_add_u64 v[8:9], v[8:9], 4, v[70:71]
	v_add_u32_e32 v15, 0xea, v88
	global_store_dwordx4 v[8:9], v[28:31], off
	v_mad_u64_u32 v[8:9], s[10:11], s6, v15, 0
	v_mov_b32_e32 v14, v9
	v_mad_u64_u32 v[14:15], s[10:11], s7, v15, v[14:15]
	v_mov_b32_e32 v9, v14
	v_fma_f64 v[42:43], s[4:5], v[60:61], v[24:25]
	v_fmac_f64_e32 v[24:25], s[2:3], v[60:61]
	v_lshl_add_u64 v[8:9], v[8:9], 4, v[70:71]
	v_add_u32_e32 v15, 0x19e, v88
	global_store_dwordx4 v[8:9], v[24:27], off
	v_mad_u64_u32 v[8:9], s[10:11], s6, v15, 0
	v_mov_b32_e32 v14, v9
	v_mad_u64_u32 v[14:15], s[10:11], s7, v15, v[14:15]
	v_mov_b32_e32 v9, v14
	v_lshl_add_u64 v[8:9], v[8:9], 4, v[70:71]
	global_store_dwordx4 v[8:9], v[42:45], off
	v_add_u32_e32 v8, 0x6c, v88
	v_lshrrev_b32_e32 v9, 2, v8
	s_mov_b32 s10, 0x16c16c17
	v_mul_hi_u32 v9, v9, s10
	v_lshrrev_b32_e32 v9, 2, v9
	v_mad_u32_u24 v24, v9, s12, v8
	v_mad_u64_u32 v[8:9], s[10:11], s6, v24, 0
	v_mov_b32_e32 v14, v9
	v_mad_u64_u32 v[14:15], s[10:11], s7, v24, v[14:15]
	v_mov_b32_e32 v9, v14
	v_add_f64 v[16:17], v[82:83], v[78:79]
	v_lshl_add_u64 v[8:9], v[8:9], 4, v[70:71]
	v_add_u32_e32 v15, 0xb4, v24
	global_store_dwordx4 v[8:9], v[16:19], off
	v_mad_u64_u32 v[8:9], s[10:11], s6, v15, 0
	v_mov_b32_e32 v14, v9
	v_mad_u64_u32 v[14:15], s[10:11], s7, v15, v[14:15]
	v_mov_b32_e32 v9, v14
	v_lshl_add_u64 v[8:9], v[8:9], 4, v[70:71]
	global_store_dwordx4 v[8:9], v[10:13], off
	s_nop 1
	v_add_u32_e32 v11, 0x168, v24
	v_mad_u64_u32 v[8:9], s[10:11], s6, v11, 0
	v_mov_b32_e32 v10, v9
	v_mad_u64_u32 v[10:11], s[10:11], s7, v11, v[10:11]
	v_mov_b32_e32 v9, v10
	v_lshl_add_u64 v[8:9], v[8:9], 4, v[70:71]
	global_store_dwordx4 v[8:9], v[20:23], off
	s_and_b64 exec, exec, s[0:1]
	s_cbranch_execz .LBB0_34
; %bb.33:
	v_subrev_u32_e32 v8, 18, v88
	v_cndmask_b32_e64 v8, v8, v91, s[0:1]
	v_lshlrev_b32_e32 v36, 1, v8
	v_lshl_add_u64 v[16:17], v[36:37], 4, s[8:9]
	global_load_dwordx4 v[8:11], v[16:17], off offset:2832
	global_load_dwordx4 v[12:15], v[16:17], off offset:2848
	v_mad_u64_u32 v[16:17], s[0:1], s6, v91, 0
	v_add_u32_e32 v25, 0x156, v88
	v_add_u32_e32 v27, 0x20a, v88
	v_mov_b32_e32 v18, v17
	v_mad_u64_u32 v[20:21], s[0:1], s6, v25, 0
	v_mad_u64_u32 v[22:23], s[0:1], s6, v27, 0
	;; [unrolled: 1-line block ×3, first 2 shown]
	v_mov_b32_e32 v24, v21
	v_mov_b32_e32 v26, v23
	;; [unrolled: 1-line block ×3, first 2 shown]
	v_mad_u64_u32 v[18:19], s[0:1], s7, v25, v[24:25]
	v_mad_u64_u32 v[24:25], s[0:1], s7, v27, v[26:27]
	v_mov_b32_e32 v21, v18
	v_mov_b32_e32 v23, v24
	v_lshl_add_u64 v[18:19], v[20:21], 4, v[70:71]
	v_lshl_add_u64 v[20:21], v[22:23], 4, v[70:71]
	;; [unrolled: 1-line block ×3, first 2 shown]
	s_waitcnt vmcnt(1)
	v_mul_f64 v[22:23], v[6:7], v[10:11]
	v_mul_f64 v[10:11], v[2:3], v[10:11]
	s_waitcnt vmcnt(0)
	v_mul_f64 v[24:25], v[34:35], v[14:15]
	v_mul_f64 v[14:15], v[32:33], v[14:15]
	v_fmac_f64_e32 v[10:11], v[6:7], v[8:9]
	v_fmac_f64_e32 v[14:15], v[34:35], v[12:13]
	v_fma_f64 v[2:3], v[2:3], v[8:9], -v[22:23]
	v_fma_f64 v[6:7], v[32:33], v[12:13], -v[24:25]
	v_add_f64 v[22:23], v[10:11], -v[14:15]
	v_add_f64 v[24:25], v[4:5], v[10:11]
	v_add_f64 v[10:11], v[10:11], v[14:15]
	;; [unrolled: 1-line block ×4, first 2 shown]
	v_add_f64 v[2:3], v[2:3], -v[6:7]
	v_fmac_f64_e32 v[4:5], -0.5, v[10:11]
	v_fmac_f64_e32 v[0:1], -0.5, v[12:13]
	v_fma_f64 v[12:13], s[4:5], v[2:3], v[4:5]
	v_fmac_f64_e32 v[4:5], s[2:3], v[2:3]
	v_add_f64 v[6:7], v[8:9], v[6:7]
	v_add_f64 v[8:9], v[24:25], v[14:15]
	v_fma_f64 v[10:11], s[2:3], v[22:23], v[0:1]
	v_fmac_f64_e32 v[0:1], s[4:5], v[22:23]
	v_mov_b32_e32 v2, v4
	v_mov_b32_e32 v3, v5
	global_store_dwordx4 v[16:17], v[6:9], off
	global_store_dwordx4 v[18:19], v[10:13], off
	;; [unrolled: 1-line block ×3, first 2 shown]
.LBB0_34:
	s_endpgm
	.section	.rodata,"a",@progbits
	.p2align	6, 0x0
	.amdhsa_kernel fft_rtc_fwd_len540_factors_3_10_6_3_wgs_216_tpt_54_halfLds_dp_ip_CI_sbrr_dirReg
		.amdhsa_group_segment_fixed_size 0
		.amdhsa_private_segment_fixed_size 0
		.amdhsa_kernarg_size 88
		.amdhsa_user_sgpr_count 2
		.amdhsa_user_sgpr_dispatch_ptr 0
		.amdhsa_user_sgpr_queue_ptr 0
		.amdhsa_user_sgpr_kernarg_segment_ptr 1
		.amdhsa_user_sgpr_dispatch_id 0
		.amdhsa_user_sgpr_kernarg_preload_length 0
		.amdhsa_user_sgpr_kernarg_preload_offset 0
		.amdhsa_user_sgpr_private_segment_size 0
		.amdhsa_uses_dynamic_stack 0
		.amdhsa_enable_private_segment 0
		.amdhsa_system_sgpr_workgroup_id_x 1
		.amdhsa_system_sgpr_workgroup_id_y 0
		.amdhsa_system_sgpr_workgroup_id_z 0
		.amdhsa_system_sgpr_workgroup_info 0
		.amdhsa_system_vgpr_workitem_id 0
		.amdhsa_next_free_vgpr 118
		.amdhsa_next_free_sgpr 24
		.amdhsa_accum_offset 120
		.amdhsa_reserve_vcc 1
		.amdhsa_float_round_mode_32 0
		.amdhsa_float_round_mode_16_64 0
		.amdhsa_float_denorm_mode_32 3
		.amdhsa_float_denorm_mode_16_64 3
		.amdhsa_dx10_clamp 1
		.amdhsa_ieee_mode 1
		.amdhsa_fp16_overflow 0
		.amdhsa_tg_split 0
		.amdhsa_exception_fp_ieee_invalid_op 0
		.amdhsa_exception_fp_denorm_src 0
		.amdhsa_exception_fp_ieee_div_zero 0
		.amdhsa_exception_fp_ieee_overflow 0
		.amdhsa_exception_fp_ieee_underflow 0
		.amdhsa_exception_fp_ieee_inexact 0
		.amdhsa_exception_int_div_zero 0
	.end_amdhsa_kernel
	.text
.Lfunc_end0:
	.size	fft_rtc_fwd_len540_factors_3_10_6_3_wgs_216_tpt_54_halfLds_dp_ip_CI_sbrr_dirReg, .Lfunc_end0-fft_rtc_fwd_len540_factors_3_10_6_3_wgs_216_tpt_54_halfLds_dp_ip_CI_sbrr_dirReg
                                        ; -- End function
	.section	.AMDGPU.csdata,"",@progbits
; Kernel info:
; codeLenInByte = 7584
; NumSgprs: 30
; NumVgprs: 118
; NumAgprs: 0
; TotalNumVgprs: 118
; ScratchSize: 0
; MemoryBound: 1
; FloatMode: 240
; IeeeMode: 1
; LDSByteSize: 0 bytes/workgroup (compile time only)
; SGPRBlocks: 3
; VGPRBlocks: 14
; NumSGPRsForWavesPerEU: 30
; NumVGPRsForWavesPerEU: 118
; AccumOffset: 120
; Occupancy: 4
; WaveLimiterHint : 1
; COMPUTE_PGM_RSRC2:SCRATCH_EN: 0
; COMPUTE_PGM_RSRC2:USER_SGPR: 2
; COMPUTE_PGM_RSRC2:TRAP_HANDLER: 0
; COMPUTE_PGM_RSRC2:TGID_X_EN: 1
; COMPUTE_PGM_RSRC2:TGID_Y_EN: 0
; COMPUTE_PGM_RSRC2:TGID_Z_EN: 0
; COMPUTE_PGM_RSRC2:TIDIG_COMP_CNT: 0
; COMPUTE_PGM_RSRC3_GFX90A:ACCUM_OFFSET: 29
; COMPUTE_PGM_RSRC3_GFX90A:TG_SPLIT: 0
	.text
	.p2alignl 6, 3212836864
	.fill 256, 4, 3212836864
	.type	__hip_cuid_ccdf8bb12ac61d71,@object ; @__hip_cuid_ccdf8bb12ac61d71
	.section	.bss,"aw",@nobits
	.globl	__hip_cuid_ccdf8bb12ac61d71
__hip_cuid_ccdf8bb12ac61d71:
	.byte	0                               ; 0x0
	.size	__hip_cuid_ccdf8bb12ac61d71, 1

	.ident	"AMD clang version 19.0.0git (https://github.com/RadeonOpenCompute/llvm-project roc-6.4.0 25133 c7fe45cf4b819c5991fe208aaa96edf142730f1d)"
	.section	".note.GNU-stack","",@progbits
	.addrsig
	.addrsig_sym __hip_cuid_ccdf8bb12ac61d71
	.amdgpu_metadata
---
amdhsa.kernels:
  - .agpr_count:     0
    .args:
      - .actual_access:  read_only
        .address_space:  global
        .offset:         0
        .size:           8
        .value_kind:     global_buffer
      - .offset:         8
        .size:           8
        .value_kind:     by_value
      - .actual_access:  read_only
        .address_space:  global
        .offset:         16
        .size:           8
        .value_kind:     global_buffer
      - .actual_access:  read_only
        .address_space:  global
        .offset:         24
        .size:           8
        .value_kind:     global_buffer
      - .offset:         32
        .size:           8
        .value_kind:     by_value
      - .actual_access:  read_only
        .address_space:  global
        .offset:         40
        .size:           8
        .value_kind:     global_buffer
      - .actual_access:  read_only
        .address_space:  global
        .offset:         48
        .size:           8
        .value_kind:     global_buffer
      - .offset:         56
        .size:           4
        .value_kind:     by_value
      - .actual_access:  read_only
        .address_space:  global
        .offset:         64
        .size:           8
        .value_kind:     global_buffer
      - .actual_access:  read_only
        .address_space:  global
        .offset:         72
        .size:           8
        .value_kind:     global_buffer
      - .address_space:  global
        .offset:         80
        .size:           8
        .value_kind:     global_buffer
    .group_segment_fixed_size: 0
    .kernarg_segment_align: 8
    .kernarg_segment_size: 88
    .language:       OpenCL C
    .language_version:
      - 2
      - 0
    .max_flat_workgroup_size: 216
    .name:           fft_rtc_fwd_len540_factors_3_10_6_3_wgs_216_tpt_54_halfLds_dp_ip_CI_sbrr_dirReg
    .private_segment_fixed_size: 0
    .sgpr_count:     30
    .sgpr_spill_count: 0
    .symbol:         fft_rtc_fwd_len540_factors_3_10_6_3_wgs_216_tpt_54_halfLds_dp_ip_CI_sbrr_dirReg.kd
    .uniform_work_group_size: 1
    .uses_dynamic_stack: false
    .vgpr_count:     118
    .vgpr_spill_count: 0
    .wavefront_size: 64
amdhsa.target:   amdgcn-amd-amdhsa--gfx950
amdhsa.version:
  - 1
  - 2
...

	.end_amdgpu_metadata
